;; amdgpu-corpus repo=ROCm/rocFFT kind=compiled arch=gfx1030 opt=O3
	.text
	.amdgcn_target "amdgcn-amd-amdhsa--gfx1030"
	.amdhsa_code_object_version 6
	.protected	fft_rtc_fwd_len350_factors_5_7_10_wgs_50_tpt_50_dp_op_CI_CI_sbrr_dirReg ; -- Begin function fft_rtc_fwd_len350_factors_5_7_10_wgs_50_tpt_50_dp_op_CI_CI_sbrr_dirReg
	.globl	fft_rtc_fwd_len350_factors_5_7_10_wgs_50_tpt_50_dp_op_CI_CI_sbrr_dirReg
	.p2align	8
	.type	fft_rtc_fwd_len350_factors_5_7_10_wgs_50_tpt_50_dp_op_CI_CI_sbrr_dirReg,@function
fft_rtc_fwd_len350_factors_5_7_10_wgs_50_tpt_50_dp_op_CI_CI_sbrr_dirReg: ; @fft_rtc_fwd_len350_factors_5_7_10_wgs_50_tpt_50_dp_op_CI_CI_sbrr_dirReg
; %bb.0:
	s_clause 0x2
	s_load_dwordx4 s[16:19], s[4:5], 0x18
	s_load_dwordx4 s[12:15], s[4:5], 0x0
	;; [unrolled: 1-line block ×3, first 2 shown]
	v_mul_u32_u24_e32 v1, 0x51f, v0
	v_mov_b32_e32 v3, 0
	s_waitcnt lgkmcnt(0)
	s_load_dwordx2 s[20:21], s[16:17], 0x0
	s_load_dwordx2 s[2:3], s[18:19], 0x0
	v_cmp_lt_u64_e64 s0, s[14:15], 2
	v_add_nc_u32_sdwa v5, s6, v1 dst_sel:DWORD dst_unused:UNUSED_PAD src0_sel:DWORD src1_sel:WORD_1
	v_mov_b32_e32 v1, 0
	v_mov_b32_e32 v6, v3
	;; [unrolled: 1-line block ×3, first 2 shown]
	s_and_b32 vcc_lo, exec_lo, s0
	s_cbranch_vccnz .LBB0_8
; %bb.1:
	s_load_dwordx2 s[0:1], s[4:5], 0x10
	v_mov_b32_e32 v1, 0
	v_mov_b32_e32 v2, 0
	s_add_u32 s6, s18, 8
	s_addc_u32 s7, s19, 0
	s_add_u32 s22, s16, 8
	s_addc_u32 s23, s17, 0
	v_mov_b32_e32 v41, v2
	v_mov_b32_e32 v40, v1
	s_mov_b64 s[26:27], 1
	s_waitcnt lgkmcnt(0)
	s_add_u32 s24, s0, 8
	s_addc_u32 s25, s1, 0
.LBB0_2:                                ; =>This Inner Loop Header: Depth=1
	s_load_dwordx2 s[28:29], s[24:25], 0x0
                                        ; implicit-def: $vgpr42_vgpr43
	s_mov_b32 s0, exec_lo
	s_waitcnt lgkmcnt(0)
	v_or_b32_e32 v4, s29, v6
	v_cmpx_ne_u64_e32 0, v[3:4]
	s_xor_b32 s1, exec_lo, s0
	s_cbranch_execz .LBB0_4
; %bb.3:                                ;   in Loop: Header=BB0_2 Depth=1
	v_cvt_f32_u32_e32 v4, s28
	v_cvt_f32_u32_e32 v7, s29
	s_sub_u32 s0, 0, s28
	s_subb_u32 s30, 0, s29
	v_fmac_f32_e32 v4, 0x4f800000, v7
	v_rcp_f32_e32 v4, v4
	v_mul_f32_e32 v4, 0x5f7ffffc, v4
	v_mul_f32_e32 v7, 0x2f800000, v4
	v_trunc_f32_e32 v7, v7
	v_fmac_f32_e32 v4, 0xcf800000, v7
	v_cvt_u32_f32_e32 v7, v7
	v_cvt_u32_f32_e32 v4, v4
	v_mul_lo_u32 v8, s0, v7
	v_mul_hi_u32 v9, s0, v4
	v_mul_lo_u32 v10, s30, v4
	v_add_nc_u32_e32 v8, v9, v8
	v_mul_lo_u32 v9, s0, v4
	v_add_nc_u32_e32 v8, v8, v10
	v_mul_hi_u32 v10, v4, v9
	v_mul_lo_u32 v11, v4, v8
	v_mul_hi_u32 v12, v4, v8
	v_mul_hi_u32 v13, v7, v9
	v_mul_lo_u32 v9, v7, v9
	v_mul_hi_u32 v14, v7, v8
	v_mul_lo_u32 v8, v7, v8
	v_add_co_u32 v10, vcc_lo, v10, v11
	v_add_co_ci_u32_e32 v11, vcc_lo, 0, v12, vcc_lo
	v_add_co_u32 v9, vcc_lo, v10, v9
	v_add_co_ci_u32_e32 v9, vcc_lo, v11, v13, vcc_lo
	v_add_co_ci_u32_e32 v10, vcc_lo, 0, v14, vcc_lo
	v_add_co_u32 v8, vcc_lo, v9, v8
	v_add_co_ci_u32_e32 v9, vcc_lo, 0, v10, vcc_lo
	v_add_co_u32 v4, vcc_lo, v4, v8
	v_add_co_ci_u32_e32 v7, vcc_lo, v7, v9, vcc_lo
	v_mul_hi_u32 v8, s0, v4
	v_mul_lo_u32 v10, s30, v4
	v_mul_lo_u32 v9, s0, v7
	v_add_nc_u32_e32 v8, v8, v9
	v_mul_lo_u32 v9, s0, v4
	v_add_nc_u32_e32 v8, v8, v10
	v_mul_hi_u32 v10, v4, v9
	v_mul_lo_u32 v11, v4, v8
	v_mul_hi_u32 v12, v4, v8
	v_mul_hi_u32 v13, v7, v9
	v_mul_lo_u32 v9, v7, v9
	v_mul_hi_u32 v14, v7, v8
	v_mul_lo_u32 v8, v7, v8
	v_add_co_u32 v10, vcc_lo, v10, v11
	v_add_co_ci_u32_e32 v11, vcc_lo, 0, v12, vcc_lo
	v_add_co_u32 v9, vcc_lo, v10, v9
	v_add_co_ci_u32_e32 v9, vcc_lo, v11, v13, vcc_lo
	v_add_co_ci_u32_e32 v10, vcc_lo, 0, v14, vcc_lo
	v_add_co_u32 v8, vcc_lo, v9, v8
	v_add_co_ci_u32_e32 v9, vcc_lo, 0, v10, vcc_lo
	v_add_co_u32 v4, vcc_lo, v4, v8
	v_add_co_ci_u32_e32 v11, vcc_lo, v7, v9, vcc_lo
	v_mul_hi_u32 v13, v5, v4
	v_mad_u64_u32 v[9:10], null, v6, v4, 0
	v_mad_u64_u32 v[7:8], null, v5, v11, 0
	v_mad_u64_u32 v[11:12], null, v6, v11, 0
	v_add_co_u32 v4, vcc_lo, v13, v7
	v_add_co_ci_u32_e32 v7, vcc_lo, 0, v8, vcc_lo
	v_add_co_u32 v4, vcc_lo, v4, v9
	v_add_co_ci_u32_e32 v4, vcc_lo, v7, v10, vcc_lo
	v_add_co_ci_u32_e32 v7, vcc_lo, 0, v12, vcc_lo
	v_add_co_u32 v4, vcc_lo, v4, v11
	v_add_co_ci_u32_e32 v9, vcc_lo, 0, v7, vcc_lo
	v_mul_lo_u32 v10, s29, v4
	v_mad_u64_u32 v[7:8], null, s28, v4, 0
	v_mul_lo_u32 v11, s28, v9
	v_sub_co_u32 v7, vcc_lo, v5, v7
	v_add3_u32 v8, v8, v11, v10
	v_sub_nc_u32_e32 v10, v6, v8
	v_subrev_co_ci_u32_e64 v10, s0, s29, v10, vcc_lo
	v_add_co_u32 v11, s0, v4, 2
	v_add_co_ci_u32_e64 v12, s0, 0, v9, s0
	v_sub_co_u32 v13, s0, v7, s28
	v_sub_co_ci_u32_e32 v8, vcc_lo, v6, v8, vcc_lo
	v_subrev_co_ci_u32_e64 v10, s0, 0, v10, s0
	v_cmp_le_u32_e32 vcc_lo, s28, v13
	v_cmp_eq_u32_e64 s0, s29, v8
	v_cndmask_b32_e64 v13, 0, -1, vcc_lo
	v_cmp_le_u32_e32 vcc_lo, s29, v10
	v_cndmask_b32_e64 v14, 0, -1, vcc_lo
	v_cmp_le_u32_e32 vcc_lo, s28, v7
	;; [unrolled: 2-line block ×3, first 2 shown]
	v_cndmask_b32_e64 v15, 0, -1, vcc_lo
	v_cmp_eq_u32_e32 vcc_lo, s29, v10
	v_cndmask_b32_e64 v7, v15, v7, s0
	v_cndmask_b32_e32 v10, v14, v13, vcc_lo
	v_add_co_u32 v13, vcc_lo, v4, 1
	v_add_co_ci_u32_e32 v14, vcc_lo, 0, v9, vcc_lo
	v_cmp_ne_u32_e32 vcc_lo, 0, v10
	v_cndmask_b32_e32 v8, v14, v12, vcc_lo
	v_cndmask_b32_e32 v10, v13, v11, vcc_lo
	v_cmp_ne_u32_e32 vcc_lo, 0, v7
	v_cndmask_b32_e32 v43, v9, v8, vcc_lo
	v_cndmask_b32_e32 v42, v4, v10, vcc_lo
.LBB0_4:                                ;   in Loop: Header=BB0_2 Depth=1
	s_andn2_saveexec_b32 s0, s1
	s_cbranch_execz .LBB0_6
; %bb.5:                                ;   in Loop: Header=BB0_2 Depth=1
	v_cvt_f32_u32_e32 v4, s28
	s_sub_i32 s1, 0, s28
	v_mov_b32_e32 v43, v3
	v_rcp_iflag_f32_e32 v4, v4
	v_mul_f32_e32 v4, 0x4f7ffffe, v4
	v_cvt_u32_f32_e32 v4, v4
	v_mul_lo_u32 v7, s1, v4
	v_mul_hi_u32 v7, v4, v7
	v_add_nc_u32_e32 v4, v4, v7
	v_mul_hi_u32 v4, v5, v4
	v_mul_lo_u32 v7, v4, s28
	v_add_nc_u32_e32 v8, 1, v4
	v_sub_nc_u32_e32 v7, v5, v7
	v_subrev_nc_u32_e32 v9, s28, v7
	v_cmp_le_u32_e32 vcc_lo, s28, v7
	v_cndmask_b32_e32 v7, v7, v9, vcc_lo
	v_cndmask_b32_e32 v4, v4, v8, vcc_lo
	v_cmp_le_u32_e32 vcc_lo, s28, v7
	v_add_nc_u32_e32 v8, 1, v4
	v_cndmask_b32_e32 v42, v4, v8, vcc_lo
.LBB0_6:                                ;   in Loop: Header=BB0_2 Depth=1
	s_or_b32 exec_lo, exec_lo, s0
	v_mul_lo_u32 v4, v43, s28
	v_mul_lo_u32 v9, v42, s29
	s_load_dwordx2 s[0:1], s[22:23], 0x0
	v_mad_u64_u32 v[7:8], null, v42, s28, 0
	s_load_dwordx2 s[28:29], s[6:7], 0x0
	s_add_u32 s26, s26, 1
	s_addc_u32 s27, s27, 0
	s_add_u32 s6, s6, 8
	s_addc_u32 s7, s7, 0
	s_add_u32 s22, s22, 8
	v_add3_u32 v4, v8, v9, v4
	v_sub_co_u32 v5, vcc_lo, v5, v7
	s_addc_u32 s23, s23, 0
	s_add_u32 s24, s24, 8
	v_sub_co_ci_u32_e32 v4, vcc_lo, v6, v4, vcc_lo
	s_addc_u32 s25, s25, 0
	s_waitcnt lgkmcnt(0)
	v_mul_lo_u32 v6, s0, v4
	v_mul_lo_u32 v7, s1, v5
	v_mad_u64_u32 v[1:2], null, s0, v5, v[1:2]
	v_mul_lo_u32 v4, s28, v4
	v_mul_lo_u32 v8, s29, v5
	v_mad_u64_u32 v[40:41], null, s28, v5, v[40:41]
	v_cmp_ge_u64_e64 s0, s[26:27], s[14:15]
	v_add3_u32 v2, v7, v2, v6
	v_add3_u32 v41, v8, v41, v4
	s_and_b32 vcc_lo, exec_lo, s0
	s_cbranch_vccnz .LBB0_9
; %bb.7:                                ;   in Loop: Header=BB0_2 Depth=1
	v_mov_b32_e32 v5, v42
	v_mov_b32_e32 v6, v43
	s_branch .LBB0_2
.LBB0_8:
	v_mov_b32_e32 v41, v2
	v_mov_b32_e32 v43, v6
	;; [unrolled: 1-line block ×4, first 2 shown]
.LBB0_9:
	s_load_dwordx2 s[0:1], s[4:5], 0x28
	v_mul_hi_u32 v3, 0x51eb852, v0
	s_lshl_b64 s[6:7], s[14:15], 3
                                        ; implicit-def: $vgpr52
                                        ; implicit-def: $vgpr54
	s_add_u32 s4, s18, s6
	s_addc_u32 s5, s19, s7
	s_waitcnt lgkmcnt(0)
	v_cmp_gt_u64_e32 vcc_lo, s[0:1], v[42:43]
	v_cmp_le_u64_e64 s0, s[0:1], v[42:43]
	s_and_saveexec_b32 s1, s0
	s_xor_b32 s0, exec_lo, s1
; %bb.10:
	v_mul_u32_u24_e32 v1, 50, v3
                                        ; implicit-def: $vgpr3
	v_sub_nc_u32_e32 v52, v0, v1
                                        ; implicit-def: $vgpr0
                                        ; implicit-def: $vgpr1_vgpr2
	v_add_nc_u32_e32 v54, 50, v52
; %bb.11:
	s_andn2_saveexec_b32 s1, s0
	s_cbranch_execz .LBB0_13
; %bb.12:
	s_add_u32 s6, s16, s6
	s_addc_u32 s7, s17, s7
	v_mul_u32_u24_e32 v3, 50, v3
	s_load_dwordx2 s[6:7], s[6:7], 0x0
	v_sub_nc_u32_e32 v52, v0, v3
	v_lshlrev_b64 v[0:1], 4, v[1:2]
	v_mad_u64_u32 v[3:4], null, s20, v52, 0
	v_add_nc_u32_e32 v54, 50, v52
	v_add_nc_u32_e32 v16, 0x64, v52
	;; [unrolled: 1-line block ×5, first 2 shown]
	v_mad_u64_u32 v[7:8], null, s20, v54, 0
	v_mov_b32_e32 v2, v4
	v_mad_u64_u32 v[9:10], null, s20, v16, 0
	s_waitcnt lgkmcnt(0)
	v_mul_lo_u32 v4, s7, v42
	v_mul_lo_u32 v14, s6, v43
	v_mad_u64_u32 v[5:6], null, s6, v42, 0
	v_mad_u64_u32 v[11:12], null, s21, v52, v[2:3]
	v_mov_b32_e32 v2, v8
	v_mov_b32_e32 v8, v10
	v_mad_u64_u32 v[12:13], null, s20, v18, 0
	v_add3_u32 v6, v6, v14, v4
	v_mad_u64_u32 v[14:15], null, s20, v20, 0
	v_mov_b32_e32 v4, v11
	v_mad_u64_u32 v[10:11], null, s21, v54, v[2:3]
	v_lshlrev_b64 v[5:6], 4, v[5:6]
	v_mad_u64_u32 v[16:17], null, s21, v16, v[8:9]
	v_lshlrev_b64 v[2:3], 4, v[3:4]
	v_add_nc_u32_e32 v11, 0xfa, v52
	v_lshl_add_u32 v28, v52, 4, 0
	v_add_co_u32 v4, s0, s8, v5
	v_add_co_ci_u32_e64 v5, s0, s9, v6, s0
	v_mov_b32_e32 v8, v10
	v_add_co_u32 v24, s0, v4, v0
	v_add_co_ci_u32_e64 v25, s0, v5, v1, s0
	v_lshlrev_b64 v[0:1], 4, v[7:8]
	v_add_co_u32 v2, s0, v24, v2
	v_add_co_ci_u32_e64 v3, s0, v25, v3, s0
	v_mov_b32_e32 v10, v16
	v_add_co_u32 v4, s0, v24, v0
	v_add_co_ci_u32_e64 v5, s0, v25, v1, s0
	v_mov_b32_e32 v0, v13
	v_mov_b32_e32 v1, v15
	v_mad_u64_u32 v[16:17], null, s20, v11, 0
	v_lshlrev_b64 v[9:10], 4, v[9:10]
	v_mad_u64_u32 v[18:19], null, s21, v18, v[0:1]
	v_mad_u64_u32 v[19:20], null, s21, v20, v[1:2]
	v_mad_u64_u32 v[20:21], null, s20, v22, 0
	v_mov_b32_e32 v8, v17
	s_clause 0x1
	global_load_dwordx4 v[0:3], v[2:3], off
	global_load_dwordx4 v[4:7], v[4:5], off
	v_mov_b32_e32 v13, v18
	v_mov_b32_e32 v15, v19
	v_mad_u64_u32 v[17:18], null, s21, v11, v[8:9]
	v_mov_b32_e32 v8, v21
	v_add_co_u32 v9, s0, v24, v9
	v_lshlrev_b64 v[11:12], 4, v[12:13]
	v_lshlrev_b64 v[13:14], 4, v[14:15]
	v_add_co_ci_u32_e64 v10, s0, v25, v10, s0
	v_mad_u64_u32 v[18:19], null, s21, v22, v[8:9]
	v_add_co_u32 v22, s0, v24, v11
	v_add_co_ci_u32_e64 v23, s0, v25, v12, s0
	v_lshlrev_b64 v[11:12], 4, v[16:17]
	v_add_co_u32 v16, s0, v24, v13
	v_mov_b32_e32 v21, v18
	v_add_co_ci_u32_e64 v17, s0, v25, v14, s0
	v_lshlrev_b64 v[13:14], 4, v[20:21]
	v_add_co_u32 v20, s0, v24, v11
	v_add_co_ci_u32_e64 v21, s0, v25, v12, s0
	v_add_co_u32 v24, s0, v24, v13
	v_add_co_ci_u32_e64 v25, s0, v25, v14, s0
	s_clause 0x4
	global_load_dwordx4 v[8:11], v[9:10], off
	global_load_dwordx4 v[12:15], v[22:23], off
	;; [unrolled: 1-line block ×5, first 2 shown]
	s_waitcnt vmcnt(6)
	ds_write_b128 v28, v[0:3]
	s_waitcnt vmcnt(5)
	ds_write_b128 v28, v[4:7] offset:800
	s_waitcnt vmcnt(4)
	ds_write_b128 v28, v[8:11] offset:1600
	;; [unrolled: 2-line block ×6, first 2 shown]
.LBB0_13:
	s_or_b32 exec_lo, exec_lo, s1
	v_lshl_add_u32 v53, v52, 4, 0
	s_load_dwordx2 s[4:5], s[4:5], 0x0
	s_waitcnt lgkmcnt(0)
	s_barrier
	buffer_gl0_inv
	ds_read_b128 v[0:3], v53 offset:1120
	ds_read_b128 v[8:11], v53
	ds_read_b128 v[12:15], v53 offset:2240
	ds_read_b128 v[55:58], v53 offset:3360
	;; [unrolled: 1-line block ×8, first 2 shown]
	s_mov_b32 s6, 0x134454ff
	s_mov_b32 s7, 0x3fee6f0e
	;; [unrolled: 1-line block ×8, first 2 shown]
	s_waitcnt lgkmcnt(0)
	s_barrier
	buffer_gl0_inv
	v_add_f64 v[32:33], v[8:9], v[0:1]
	v_add_f64 v[34:35], v[10:11], v[2:3]
	;; [unrolled: 1-line block ×3, first 2 shown]
	v_add_f64 v[38:39], v[0:1], -v[12:13]
	v_add_f64 v[44:45], v[12:13], -v[0:1]
	v_add_f64 v[46:47], v[14:15], v[57:58]
	v_add_f64 v[48:49], v[2:3], -v[14:15]
	v_add_f64 v[50:51], v[0:1], v[59:60]
	v_add_f64 v[67:68], v[2:3], v[61:62]
	v_add_f64 v[69:70], v[14:15], -v[2:3]
	v_add_f64 v[2:3], v[2:3], -v[61:62]
	;; [unrolled: 1-line block ×5, first 2 shown]
	v_add_f64 v[79:80], v[28:29], v[4:5]
	v_add_f64 v[85:86], v[30:31], v[6:7]
	;; [unrolled: 1-line block ×4, first 2 shown]
	v_add_f64 v[63:64], v[14:15], -v[57:58]
	v_add_f64 v[65:66], v[12:13], -v[55:56]
	;; [unrolled: 1-line block ×6, first 2 shown]
	v_fma_f64 v[95:96], v[36:37], -0.5, v[8:9]
	v_add_f64 v[89:90], v[18:19], -v[6:7]
	v_add_f64 v[91:92], v[28:29], -v[20:21]
	v_add_f64 v[12:13], v[32:33], v[12:13]
	v_add_f64 v[14:15], v[34:35], v[14:15]
	v_add_f64 v[99:100], v[4:5], -v[16:17]
	v_fma_f64 v[101:102], v[46:47], -0.5, v[10:11]
	v_fma_f64 v[8:9], v[50:51], -0.5, v[8:9]
	v_fma_f64 v[10:11], v[67:68], -0.5, v[10:11]
	v_add_f64 v[67:68], v[30:31], -v[22:23]
	v_add_f64 v[103:104], v[6:7], -v[18:19]
	;; [unrolled: 1-line block ×3, first 2 shown]
	v_add_f64 v[71:72], v[38:39], v[71:72]
	v_add_f64 v[34:35], v[30:31], -v[6:7]
	v_add_f64 v[73:74], v[44:45], v[73:74]
	v_add_f64 v[36:37], v[20:21], -v[16:17]
	v_fma_f64 v[79:80], v[79:80], -0.5, v[24:25]
	v_fma_f64 v[85:86], v[85:86], -0.5, v[26:27]
	v_add_f64 v[50:51], v[28:29], -v[4:5]
	v_add_f64 v[77:78], v[69:70], v[77:78]
	v_fma_f64 v[38:39], v[93:94], -0.5, v[24:25]
	v_fma_f64 v[44:45], v[97:98], -0.5, v[26:27]
	v_fma_f64 v[69:70], v[2:3], s[6:7], v[95:96]
	v_fma_f64 v[93:94], v[2:3], s[0:1], v[95:96]
	v_add_f64 v[0:1], v[0:1], -v[59:60]
	v_add_f64 v[75:76], v[48:49], v[75:76]
	v_add_f64 v[81:82], v[81:82], v[83:84]
	;; [unrolled: 1-line block ×5, first 2 shown]
	v_fma_f64 v[87:88], v[65:66], s[6:7], v[10:11]
	v_fma_f64 v[10:11], v[65:66], s[0:1], v[10:11]
	v_add_f64 v[48:49], v[67:68], v[103:104]
	v_fma_f64 v[67:68], v[63:64], s[0:1], v[8:9]
	v_fma_f64 v[8:9], v[63:64], s[6:7], v[8:9]
	v_add_f64 v[14:15], v[14:15], v[57:58]
	v_fma_f64 v[89:90], v[32:33], s[0:1], v[79:80]
	v_fma_f64 v[91:92], v[36:37], s[6:7], v[85:86]
	;; [unrolled: 1-line block ×10, first 2 shown]
	s_mov_b32 s1, exec_lo
	v_fma_f64 v[87:88], v[0:1], s[14:15], v[87:88]
	v_fma_f64 v[0:1], v[0:1], s[8:9], v[10:11]
	;; [unrolled: 1-line block ×12, first 2 shown]
	s_mov_b32 s14, 0x372fe950
	s_mov_b32 s15, 0x3fd3c6ef
	v_add_f64 v[55:56], v[12:13], v[59:60]
	v_add_f64 v[57:58], v[14:15], v[61:62]
	v_fma_f64 v[59:60], v[71:72], s[14:15], v[69:70]
	v_fma_f64 v[63:64], v[71:72], s[14:15], v[63:64]
	v_fma_f64 v[67:68], v[73:74], s[14:15], v[67:68]
	v_fma_f64 v[71:72], v[73:74], s[14:15], v[2:3]
	v_fma_f64 v[73:74], v[77:78], s[14:15], v[0:1]
	v_fma_f64 v[69:70], v[77:78], s[14:15], v[87:88]
	v_fma_f64 v[8:9], v[81:82], s[14:15], v[8:9]
	v_fma_f64 v[10:11], v[83:84], s[14:15], v[10:11]
	v_fma_f64 v[0:1], v[81:82], s[14:15], v[79:80]
	v_fma_f64 v[2:3], v[83:84], s[14:15], v[85:86]
	v_fma_f64 v[12:13], v[46:47], s[14:15], v[89:90]
	v_fma_f64 v[14:15], v[48:49], s[14:15], v[91:92]
	v_fma_f64 v[61:62], v[75:76], s[14:15], v[97:98]
	v_fma_f64 v[65:66], v[75:76], s[14:15], v[65:66]
	v_lshl_add_u32 v75, v52, 6, v53
	ds_write_b128 v75, v[55:58]
	ds_write_b128 v75, v[59:62] offset:16
	ds_write_b128 v75, v[67:70] offset:32
	;; [unrolled: 1-line block ×4, first 2 shown]
	v_cmpx_gt_u32_e32 20, v52
	s_cbranch_execz .LBB0_15
; %bb.14:
	v_add_f64 v[26:27], v[26:27], v[30:31]
	v_add_f64 v[24:25], v[24:25], v[28:29]
	v_mul_f64 v[50:51], v[50:51], s[6:7]
	v_mul_f64 v[28:29], v[34:35], s[6:7]
	;; [unrolled: 1-line block ×4, first 2 shown]
	v_add_f64 v[22:23], v[26:27], v[22:23]
	v_add_f64 v[20:21], v[24:25], v[20:21]
	v_add_f64 v[34:35], v[44:45], -v[50:51]
	v_add_f64 v[24:25], v[38:39], v[28:29]
	v_mul_f64 v[26:27], v[46:47], s[14:15]
	v_mul_f64 v[28:29], v[48:49], s[14:15]
	v_add_f64 v[22:23], v[22:23], v[18:19]
	v_add_f64 v[16:17], v[20:21], v[16:17]
	v_add_f64 v[32:33], v[34:35], -v[32:33]
	v_add_f64 v[20:21], v[30:31], v[24:25]
	v_add_f64 v[6:7], v[22:23], v[6:7]
	;; [unrolled: 1-line block ×5, first 2 shown]
	v_mad_i32_i24 v20, 0x50, v54, 0
	ds_write_b128 v20, v[8:11] offset:32
	ds_write_b128 v20, v[0:3] offset:48
	ds_write_b128 v20, v[4:7]
	ds_write_b128 v20, v[16:19] offset:16
	ds_write_b128 v20, v[12:15] offset:64
.LBB0_15:
	s_or_b32 exec_lo, exec_lo, s1
	v_and_b32_e32 v4, 0xff, v52
	v_mov_b32_e32 v5, 6
	s_waitcnt lgkmcnt(0)
	s_barrier
	buffer_gl0_inv
	v_mul_lo_u16 v4, 0xcd, v4
	v_lshl_add_u32 v36, v54, 4, 0
	s_mov_b32 s0, 0x37e14327
	s_mov_b32 s1, 0x3fe948f6
	s_mov_b32 s6, 0x36b3c0b5
	v_lshrrev_b16 v78, 10, v4
	s_mov_b32 s8, 0xe976ee23
	s_mov_b32 s7, 0x3fac98ee
	;; [unrolled: 1-line block ×4, first 2 shown]
	v_mul_lo_u16 v4, v78, 5
	s_mov_b32 s14, 0x5476071b
	s_mov_b32 s17, 0x3fd5d0dc
	;; [unrolled: 1-line block ×3, first 2 shown]
	v_sub_nc_u16 v79, v52, v4
	v_mul_u32_u24_sdwa v4, v79, v5 dst_sel:DWORD dst_unused:UNUSED_PAD src0_sel:BYTE_0 src1_sel:DWORD
	v_lshlrev_b32_e32 v32, 4, v4
	s_clause 0x5
	global_load_dwordx4 v[4:7], v32, s[12:13]
	global_load_dwordx4 v[16:19], v32, s[12:13] offset:16
	global_load_dwordx4 v[20:23], v32, s[12:13] offset:80
	;; [unrolled: 1-line block ×5, first 2 shown]
	ds_read_b128 v[36:39], v36
	ds_read_b128 v[44:47], v53 offset:1600
	ds_read_b128 v[48:51], v53 offset:4800
	;; [unrolled: 1-line block ×5, first 2 shown]
	s_waitcnt vmcnt(5) lgkmcnt(5)
	v_mul_f64 v[66:67], v[38:39], v[6:7]
	v_mul_f64 v[6:7], v[36:37], v[6:7]
	s_waitcnt vmcnt(4) lgkmcnt(4)
	v_mul_f64 v[68:69], v[46:47], v[18:19]
	v_mul_f64 v[18:19], v[44:45], v[18:19]
	;; [unrolled: 3-line block ×6, first 2 shown]
	v_fma_f64 v[36:37], v[36:37], v[4:5], -v[66:67]
	v_fma_f64 v[4:5], v[38:39], v[4:5], v[6:7]
	v_fma_f64 v[6:7], v[44:45], v[16:17], -v[68:69]
	v_fma_f64 v[16:17], v[46:47], v[16:17], v[18:19]
	;; [unrolled: 2-line block ×6, first 2 shown]
	v_add_f64 v[34:35], v[36:37], v[18:19]
	v_add_f64 v[38:39], v[4:5], v[20:21]
	;; [unrolled: 1-line block ×4, first 2 shown]
	v_add_f64 v[22:23], v[6:7], -v[22:23]
	v_add_f64 v[16:17], v[16:17], -v[24:25]
	v_add_f64 v[48:49], v[26:27], v[30:31]
	v_add_f64 v[50:51], v[28:29], v[32:33]
	v_add_f64 v[24:25], v[30:31], -v[26:27]
	v_add_f64 v[26:27], v[32:33], -v[28:29]
	;; [unrolled: 1-line block ×4, first 2 shown]
	ds_read_b128 v[4:7], v53
	s_waitcnt lgkmcnt(0)
	s_barrier
	buffer_gl0_inv
	v_add_f64 v[28:29], v[44:45], v[34:35]
	v_add_f64 v[30:31], v[46:47], v[38:39]
	v_add_f64 v[32:33], v[34:35], -v[48:49]
	v_add_f64 v[36:37], v[38:39], -v[50:51]
	;; [unrolled: 1-line block ×10, first 2 shown]
	v_add_f64 v[22:23], v[24:25], v[22:23]
	v_add_f64 v[16:17], v[26:27], v[16:17]
	v_add_f64 v[24:25], v[18:19], -v[24:25]
	v_add_f64 v[26:27], v[20:21], -v[26:27]
	v_add_f64 v[28:29], v[48:49], v[28:29]
	v_add_f64 v[30:31], v[50:51], v[30:31]
	v_mul_f64 v[32:33], v[32:33], s[0:1]
	v_mul_f64 v[36:37], v[36:37], s[0:1]
	s_mov_b32 s0, 0x429ad128
	v_mul_f64 v[44:45], v[54:55], s[6:7]
	v_mul_f64 v[46:47], v[56:57], s[6:7]
	;; [unrolled: 1-line block ×4, first 2 shown]
	s_mov_b32 s1, 0x3febfeb5
	s_mov_b32 s8, 0xaaaaaaaa
	v_mul_f64 v[58:59], v[62:63], s[0:1]
	v_mul_f64 v[60:61], v[64:65], s[0:1]
	s_mov_b32 s9, 0xbff2aaaa
	v_add_f64 v[18:19], v[22:23], v[18:19]
	v_add_f64 v[16:17], v[16:17], v[20:21]
	;; [unrolled: 1-line block ×4, first 2 shown]
	v_fma_f64 v[20:21], v[54:55], s[6:7], v[32:33]
	v_fma_f64 v[22:23], v[56:57], s[6:7], v[36:37]
	v_fma_f64 v[44:45], v[34:35], s[14:15], -v[44:45]
	v_fma_f64 v[46:47], v[38:39], s[14:15], -v[46:47]
	s_mov_b32 s15, 0xbfe77f67
	v_fma_f64 v[54:55], v[24:25], s[16:17], v[48:49]
	v_fma_f64 v[56:57], v[26:27], s[16:17], v[50:51]
	s_mov_b32 s17, 0xbfd5d0dc
	v_fma_f64 v[48:49], v[62:63], s[0:1], -v[48:49]
	v_fma_f64 v[50:51], v[64:65], s[0:1], -v[50:51]
	;; [unrolled: 1-line block ×6, first 2 shown]
	s_mov_b32 s0, 0x37c3f68c
	s_mov_b32 s1, 0x3fdc38aa
	v_fma_f64 v[28:29], v[28:29], s[8:9], v[4:5]
	v_fma_f64 v[30:31], v[30:31], s[8:9], v[6:7]
	;; [unrolled: 1-line block ×8, first 2 shown]
	v_cmp_gt_u32_e64 s0, 35, v52
	v_add_f64 v[58:59], v[20:21], v[28:29]
	v_add_f64 v[60:61], v[22:23], v[30:31]
	;; [unrolled: 1-line block ×6, first 2 shown]
	v_mov_b32_e32 v44, 0x230
	v_mov_b32_e32 v45, 4
	v_mul_u32_u24_sdwa v44, v78, v44 dst_sel:DWORD dst_unused:UNUSED_PAD src0_sel:WORD_0 src1_sel:DWORD
	v_lshlrev_b32_sdwa v45, v45, v79 dst_sel:DWORD dst_unused:UNUSED_PAD src0_sel:DWORD src1_sel:BYTE_0
	v_add3_u32 v44, 0, v44, v45
	v_add_f64 v[16:17], v[56:57], v[58:59]
	v_add_f64 v[18:19], v[60:61], -v[54:55]
	v_add_f64 v[20:21], v[50:51], v[62:63]
	v_add_f64 v[22:23], v[64:65], -v[48:49]
	v_add_f64 v[32:33], v[24:25], -v[38:39]
	v_add_f64 v[34:35], v[36:37], v[26:27]
	v_add_f64 v[24:25], v[38:39], v[24:25]
	v_add_f64 v[26:27], v[26:27], -v[36:37]
	v_add_f64 v[36:37], v[62:63], -v[50:51]
	v_add_f64 v[38:39], v[48:49], v[64:65]
	v_add_f64 v[28:29], v[58:59], -v[56:57]
	v_add_f64 v[30:31], v[54:55], v[60:61]
	ds_write_b128 v44, v[4:7]
	ds_write_b128 v44, v[16:19] offset:80
	ds_write_b128 v44, v[20:23] offset:160
	;; [unrolled: 1-line block ×6, first 2 shown]
	s_waitcnt lgkmcnt(0)
	s_barrier
	buffer_gl0_inv
	s_and_saveexec_b32 s1, s0
	s_cbranch_execz .LBB0_17
; %bb.16:
	ds_read_b128 v[4:7], v53
	ds_read_b128 v[16:19], v53 offset:560
	ds_read_b128 v[20:23], v53 offset:1120
	;; [unrolled: 1-line block ×9, first 2 shown]
.LBB0_17:
	s_or_b32 exec_lo, exec_lo, s1
	s_waitcnt lgkmcnt(0)
	s_barrier
	buffer_gl0_inv
	s_and_saveexec_b32 s18, s0
	s_cbranch_execz .LBB0_19
; %bb.18:
	v_subrev_nc_u32_e32 v44, 35, v52
	v_mov_b32_e32 v45, 0
	s_mov_b32 s7, 0xbfee6f0e
	s_mov_b32 s8, 0x4755a5e
	;; [unrolled: 1-line block ×3, first 2 shown]
	v_cndmask_b32_e64 v44, v44, v52, s0
	s_mov_b32 s14, 0x372fe950
	s_mov_b32 s15, 0x3fd3c6ef
	;; [unrolled: 1-line block ×4, first 2 shown]
	v_mul_i32_i24_e32 v44, 9, v44
	v_lshlrev_b64 v[44:45], 4, v[44:45]
	v_add_co_u32 v78, s0, s12, v44
	v_add_co_ci_u32_e64 v79, s0, s13, v45, s0
	s_mov_b32 s0, 0x134454ff
	s_mov_b32 s1, 0x3fee6f0e
	;; [unrolled: 1-line block ×3, first 2 shown]
	s_clause 0x8
	global_load_dwordx4 v[44:47], v[78:79], off offset:512
	global_load_dwordx4 v[48:51], v[78:79], off offset:544
	;; [unrolled: 1-line block ×9, first 2 shown]
	s_mov_b32 s13, 0xbfe2cf23
	s_mov_b32 s12, s8
	s_waitcnt vmcnt(8)
	v_mul_f64 v[82:83], v[34:35], v[46:47]
	v_mul_f64 v[46:47], v[32:33], v[46:47]
	s_waitcnt vmcnt(7)
	v_mul_f64 v[84:85], v[36:37], v[50:51]
	s_waitcnt vmcnt(6)
	;; [unrolled: 2-line block ×3, first 2 shown]
	v_mul_f64 v[88:89], v[14:15], v[60:61]
	v_mul_f64 v[60:61], v[12:13], v[60:61]
	;; [unrolled: 1-line block ×4, first 2 shown]
	s_waitcnt vmcnt(2)
	v_mul_f64 v[94:95], v[18:19], v[72:73]
	v_mul_f64 v[72:73], v[16:17], v[72:73]
	;; [unrolled: 1-line block ×6, first 2 shown]
	v_fma_f64 v[32:33], v[32:33], v[44:45], -v[82:83]
	v_fma_f64 v[34:35], v[34:35], v[44:45], v[46:47]
	v_fma_f64 v[38:39], v[38:39], v[48:49], v[84:85]
	;; [unrolled: 1-line block ×3, first 2 shown]
	v_fma_f64 v[12:13], v[12:13], v[58:59], -v[88:89]
	v_fma_f64 v[14:15], v[14:15], v[58:59], v[60:61]
	v_fma_f64 v[36:37], v[36:37], v[48:49], -v[50:51]
	v_fma_f64 v[8:9], v[8:9], v[54:55], -v[56:57]
	s_waitcnt vmcnt(1)
	v_mul_f64 v[44:45], v[20:21], v[76:77]
	s_waitcnt vmcnt(0)
	v_mul_f64 v[46:47], v[0:1], v[80:81]
	v_mul_f64 v[48:49], v[22:23], v[76:77]
	;; [unrolled: 1-line block ×3, first 2 shown]
	v_fma_f64 v[16:17], v[16:17], v[70:71], -v[94:95]
	v_fma_f64 v[18:19], v[18:19], v[70:71], v[72:73]
	v_fma_f64 v[26:27], v[26:27], v[62:63], v[90:91]
	v_fma_f64 v[24:25], v[24:25], v[62:63], -v[64:65]
	v_fma_f64 v[30:31], v[30:31], v[66:67], v[92:93]
	v_fma_f64 v[28:29], v[28:29], v[66:67], -v[68:69]
	v_add_f64 v[76:77], v[34:35], -v[38:39]
	v_add_f64 v[54:55], v[38:39], v[10:11]
	v_add_f64 v[58:59], v[32:33], v[12:13]
	;; [unrolled: 1-line block ×3, first 2 shown]
	v_add_f64 v[72:73], v[32:33], -v[36:37]
	v_add_f64 v[60:61], v[36:37], v[8:9]
	v_fma_f64 v[22:23], v[22:23], v[74:75], v[44:45]
	v_fma_f64 v[2:3], v[2:3], v[78:79], v[46:47]
	v_fma_f64 v[20:21], v[20:21], v[74:75], -v[48:49]
	v_fma_f64 v[0:1], v[0:1], v[78:79], -v[50:51]
	v_add_f64 v[44:45], v[34:35], -v[14:15]
	v_add_f64 v[46:47], v[38:39], -v[10:11]
	;; [unrolled: 1-line block ×4, first 2 shown]
	v_add_f64 v[62:63], v[26:27], v[30:31]
	v_add_f64 v[66:67], v[24:25], v[28:29]
	v_add_f64 v[74:75], v[12:13], -v[8:9]
	v_add_f64 v[78:79], v[14:15], -v[10:11]
	;; [unrolled: 1-line block ×7, first 2 shown]
	v_fma_f64 v[54:55], v[54:55], -0.5, v[18:19]
	v_fma_f64 v[58:59], v[58:59], -0.5, v[16:17]
	;; [unrolled: 1-line block ×3, first 2 shown]
	v_add_f64 v[18:19], v[18:19], v[34:35]
	v_fma_f64 v[60:61], v[60:61], -0.5, v[16:17]
	v_add_f64 v[16:17], v[16:17], v[32:33]
	v_add_f64 v[64:65], v[22:23], v[2:3]
	;; [unrolled: 1-line block ×5, first 2 shown]
	v_add_f64 v[70:71], v[22:23], -v[26:27]
	v_add_f64 v[90:91], v[2:3], -v[30:31]
	;; [unrolled: 1-line block ×6, first 2 shown]
	v_fma_f64 v[62:63], v[62:63], -0.5, v[6:7]
	v_fma_f64 v[66:67], v[66:67], -0.5, v[4:5]
	v_add_f64 v[108:109], v[20:21], -v[24:25]
	v_add_f64 v[20:21], v[24:25], -v[20:21]
	;; [unrolled: 1-line block ×4, first 2 shown]
	v_fma_f64 v[32:33], v[48:49], s[0:1], v[54:55]
	v_fma_f64 v[94:95], v[46:47], s[6:7], v[58:59]
	;; [unrolled: 1-line block ×8, first 2 shown]
	v_fma_f64 v[6:7], v[64:65], -0.5, v[6:7]
	v_add_f64 v[64:65], v[72:73], v[74:75]
	v_add_f64 v[72:73], v[76:77], v[78:79]
	;; [unrolled: 1-line block ×4, first 2 shown]
	v_fma_f64 v[4:5], v[68:69], -0.5, v[4:5]
	v_add_f64 v[26:27], v[88:89], v[26:27]
	v_add_f64 v[18:19], v[18:19], v[38:39]
	;; [unrolled: 1-line block ×4, first 2 shown]
	v_add_f64 v[68:69], v[28:29], -v[0:1]
	v_fma_f64 v[34:35], v[102:103], s[0:1], v[62:63]
	v_fma_f64 v[38:39], v[102:103], s[6:7], v[62:63]
	;; [unrolled: 1-line block ×10, first 2 shown]
	v_add_f64 v[54:55], v[70:71], v[90:91]
	v_fma_f64 v[36:37], v[104:105], s[6:7], v[6:7]
	v_fma_f64 v[6:7], v[104:105], s[0:1], v[6:7]
	;; [unrolled: 1-line block ×4, first 2 shown]
	v_add_f64 v[56:57], v[98:99], v[100:101]
	v_add_f64 v[26:27], v[26:27], v[30:31]
	;; [unrolled: 1-line block ×6, first 2 shown]
	v_fma_f64 v[16:17], v[104:105], s[8:9], v[34:35]
	v_fma_f64 v[28:29], v[104:105], s[12:13], v[38:39]
	v_fma_f64 v[32:33], v[72:73], s[14:15], v[32:33]
	v_fma_f64 v[60:61], v[74:75], s[14:15], v[80:81]
	v_fma_f64 v[58:59], v[76:77], s[14:15], v[78:79]
	v_fma_f64 v[78:79], v[106:107], s[0:1], v[4:5]
	v_fma_f64 v[62:63], v[64:65], s[14:15], v[82:83]
	v_fma_f64 v[4:5], v[106:107], s[6:7], v[4:5]
	v_fma_f64 v[50:51], v[72:73], s[14:15], v[50:51]
	v_fma_f64 v[48:49], v[76:77], s[14:15], v[48:49]
	v_fma_f64 v[44:45], v[74:75], s[14:15], v[44:45]
	v_fma_f64 v[46:47], v[64:65], s[14:15], v[46:47]
	v_add_f64 v[64:65], v[108:109], v[110:111]
	v_fma_f64 v[24:25], v[102:103], s[8:9], v[36:37]
	v_fma_f64 v[6:7], v[102:103], s[12:13], v[6:7]
	;; [unrolled: 1-line block ×3, first 2 shown]
	v_add_f64 v[26:27], v[26:27], v[2:3]
	v_add_f64 v[10:11], v[10:11], v[14:15]
	;; [unrolled: 1-line block ×4, first 2 shown]
	v_fma_f64 v[12:13], v[54:55], s[14:15], v[16:17]
	v_fma_f64 v[28:29], v[54:55], s[14:15], v[28:29]
	v_mul_f64 v[30:31], v[32:33], s[16:17]
	v_mul_f64 v[36:37], v[60:61], s[6:7]
	;; [unrolled: 1-line block ×3, first 2 shown]
	v_fma_f64 v[70:71], v[22:23], s[12:13], v[78:79]
	v_mul_f64 v[38:39], v[62:63], s[12:13]
	v_fma_f64 v[4:5], v[22:23], s[8:9], v[4:5]
	v_fma_f64 v[22:23], v[106:107], s[8:9], v[66:67]
	v_mul_f64 v[66:67], v[50:51], s[8:9]
	v_mul_f64 v[72:73], v[48:49], s[0:1]
	;; [unrolled: 1-line block ×4, first 2 shown]
	v_fma_f64 v[16:17], v[56:57], s[14:15], v[24:25]
	v_fma_f64 v[24:25], v[56:57], s[14:15], v[6:7]
	v_add_f64 v[6:7], v[26:27], v[10:11]
	v_add_f64 v[2:3], v[26:27], -v[10:11]
	v_add_f64 v[0:1], v[14:15], -v[8:9]
	v_fma_f64 v[30:31], v[46:47], s[12:13], -v[30:31]
	v_fma_f64 v[36:37], v[48:49], s[14:15], v[36:37]
	v_fma_f64 v[34:35], v[44:45], s[6:7], -v[34:35]
	v_fma_f64 v[46:47], v[20:21], s[14:15], v[70:71]
	v_fma_f64 v[38:39], v[50:51], s[16:17], v[38:39]
	v_fma_f64 v[48:49], v[20:21], s[14:15], v[4:5]
	v_fma_f64 v[20:21], v[64:65], s[14:15], v[22:23]
	v_fma_f64 v[50:51], v[62:63], s[16:17], v[66:67]
	v_fma_f64 v[54:55], v[60:61], s[14:15], v[72:73]
	v_fma_f64 v[56:57], v[58:59], s[0:1], -v[74:75]
	v_fma_f64 v[44:45], v[64:65], s[14:15], v[68:69]
	v_fma_f64 v[58:59], v[32:33], s[8:9], -v[76:77]
	v_add_f64 v[4:5], v[14:15], v[8:9]
	v_add_f64 v[10:11], v[12:13], -v[30:31]
	v_add_f64 v[18:19], v[24:25], -v[36:37]
	v_add_f64 v[14:15], v[16:17], -v[34:35]
	v_add_f64 v[26:27], v[12:13], v[30:31]
	v_add_f64 v[22:23], v[28:29], -v[38:39]
	v_add_f64 v[30:31], v[16:17], v[34:35]
	v_add_f64 v[34:35], v[24:25], v[36:37]
	;; [unrolled: 1-line block ×7, first 2 shown]
	v_add_f64 v[20:21], v[20:21], -v[50:51]
	v_add_f64 v[16:17], v[48:49], -v[54:55]
	;; [unrolled: 1-line block ×4, first 2 shown]
	ds_write_b128 v53, v[4:7]
	ds_write_b128 v53, v[0:3] offset:2800
	ds_write_b128 v53, v[36:39] offset:560
	;; [unrolled: 1-line block ×9, first 2 shown]
.LBB0_19:
	s_or_b32 exec_lo, exec_lo, s18
	s_waitcnt lgkmcnt(0)
	s_barrier
	buffer_gl0_inv
	s_and_saveexec_b32 s0, vcc_lo
	s_cbranch_execz .LBB0_21
; %bb.20:
	v_mul_lo_u32 v4, s5, v42
	v_mul_lo_u32 v5, s4, v43
	v_mad_u64_u32 v[0:1], null, s4, v42, 0
	v_add_nc_u32_e32 v6, 50, v52
	v_mad_u64_u32 v[2:3], null, s2, v52, 0
	v_add_nc_u32_e32 v14, 0x64, v52
	v_lshl_add_u32 v17, v52, 4, 0
	v_mad_u64_u32 v[8:9], null, s2, v6, 0
	v_add3_u32 v1, v1, v5, v4
	v_mad_u64_u32 v[10:11], null, s2, v14, 0
	v_mad_u64_u32 v[3:4], null, s3, v52, v[3:4]
	v_lshlrev_b64 v[0:1], 4, v[0:1]
	v_mov_b32_e32 v4, v9
	v_add_nc_u32_e32 v18, 0x96, v52
	v_add_co_u32 v7, vcc_lo, s10, v0
	v_add_co_ci_u32_e32 v9, vcc_lo, s11, v1, vcc_lo
	v_lshlrev_b64 v[0:1], 4, v[40:41]
	v_mad_u64_u32 v[4:5], null, s3, v6, v[4:5]
	v_lshlrev_b64 v[12:13], 4, v[2:3]
	v_add_co_u32 v30, vcc_lo, v7, v0
	v_add_co_ci_u32_e32 v31, vcc_lo, v9, v1, vcc_lo
	v_mov_b32_e32 v9, v4
	ds_read_b128 v[0:3], v17
	ds_read_b128 v[4:7], v17 offset:800
	v_add_co_u32 v12, vcc_lo, v30, v12
	v_add_co_ci_u32_e32 v13, vcc_lo, v31, v13, vcc_lo
	v_lshlrev_b64 v[8:9], 4, v[8:9]
	v_mad_u64_u32 v[14:15], null, s3, v14, v[11:12]
	v_mad_u64_u32 v[15:16], null, s2, v18, 0
	v_add_co_u32 v8, vcc_lo, v30, v8
	v_add_co_ci_u32_e32 v9, vcc_lo, v31, v9, vcc_lo
	v_mov_b32_e32 v11, v14
	s_waitcnt lgkmcnt(1)
	global_store_dwordx4 v[12:13], v[0:3], off
	s_waitcnt lgkmcnt(0)
	global_store_dwordx4 v[8:9], v[4:7], off
	v_lshlrev_b64 v[1:2], 4, v[10:11]
	v_mov_b32_e32 v0, v16
	v_add_nc_u32_e32 v5, 0xc8, v52
	v_add_nc_u32_e32 v14, 0xfa, v52
	v_mad_u64_u32 v[3:4], null, s3, v18, v[0:1]
	v_mad_u64_u32 v[8:9], null, s2, v5, 0
	;; [unrolled: 1-line block ×3, first 2 shown]
	v_add_nc_u32_e32 v18, 0x12c, v52
	v_add_co_u32 v22, vcc_lo, v30, v1
	v_mov_b32_e32 v16, v3
	v_mov_b32_e32 v0, v9
	v_mad_u64_u32 v[24:25], null, s2, v18, 0
	v_add_co_ci_u32_e32 v23, vcc_lo, v31, v2, vcc_lo
	v_mad_u64_u32 v[9:10], null, s3, v5, v[0:1]
	v_lshlrev_b64 v[11:12], 4, v[15:16]
	v_mov_b32_e32 v10, v21
	v_mov_b32_e32 v13, v25
	ds_read_b128 v[0:3], v17 offset:1600
	ds_read_b128 v[4:7], v17 offset:2400
	v_mad_u64_u32 v[14:15], null, s3, v14, v[10:11]
	v_lshlrev_b64 v[28:29], 4, v[8:9]
	v_mad_u64_u32 v[25:26], null, s3, v18, v[13:14]
	v_add_co_u32 v26, vcc_lo, v30, v11
	v_add_co_ci_u32_e32 v27, vcc_lo, v31, v12, vcc_lo
	v_mov_b32_e32 v21, v14
	ds_read_b128 v[8:11], v17 offset:3200
	ds_read_b128 v[12:15], v17 offset:4000
	;; [unrolled: 1-line block ×3, first 2 shown]
	v_add_co_u32 v28, vcc_lo, v30, v28
	v_lshlrev_b64 v[24:25], 4, v[24:25]
	v_lshlrev_b64 v[20:21], 4, v[20:21]
	v_add_co_ci_u32_e32 v29, vcc_lo, v31, v29, vcc_lo
	v_add_co_u32 v20, vcc_lo, v30, v20
	v_add_co_ci_u32_e32 v21, vcc_lo, v31, v21, vcc_lo
	v_add_co_u32 v24, vcc_lo, v30, v24
	v_add_co_ci_u32_e32 v25, vcc_lo, v31, v25, vcc_lo
	s_waitcnt lgkmcnt(4)
	global_store_dwordx4 v[22:23], v[0:3], off
	s_waitcnt lgkmcnt(3)
	global_store_dwordx4 v[26:27], v[4:7], off
	;; [unrolled: 2-line block ×5, first 2 shown]
.LBB0_21:
	s_endpgm
	.section	.rodata,"a",@progbits
	.p2align	6, 0x0
	.amdhsa_kernel fft_rtc_fwd_len350_factors_5_7_10_wgs_50_tpt_50_dp_op_CI_CI_sbrr_dirReg
		.amdhsa_group_segment_fixed_size 0
		.amdhsa_private_segment_fixed_size 0
		.amdhsa_kernarg_size 104
		.amdhsa_user_sgpr_count 6
		.amdhsa_user_sgpr_private_segment_buffer 1
		.amdhsa_user_sgpr_dispatch_ptr 0
		.amdhsa_user_sgpr_queue_ptr 0
		.amdhsa_user_sgpr_kernarg_segment_ptr 1
		.amdhsa_user_sgpr_dispatch_id 0
		.amdhsa_user_sgpr_flat_scratch_init 0
		.amdhsa_user_sgpr_private_segment_size 0
		.amdhsa_wavefront_size32 1
		.amdhsa_uses_dynamic_stack 0
		.amdhsa_system_sgpr_private_segment_wavefront_offset 0
		.amdhsa_system_sgpr_workgroup_id_x 1
		.amdhsa_system_sgpr_workgroup_id_y 0
		.amdhsa_system_sgpr_workgroup_id_z 0
		.amdhsa_system_sgpr_workgroup_info 0
		.amdhsa_system_vgpr_workitem_id 0
		.amdhsa_next_free_vgpr 112
		.amdhsa_next_free_sgpr 31
		.amdhsa_reserve_vcc 1
		.amdhsa_reserve_flat_scratch 0
		.amdhsa_float_round_mode_32 0
		.amdhsa_float_round_mode_16_64 0
		.amdhsa_float_denorm_mode_32 3
		.amdhsa_float_denorm_mode_16_64 3
		.amdhsa_dx10_clamp 1
		.amdhsa_ieee_mode 1
		.amdhsa_fp16_overflow 0
		.amdhsa_workgroup_processor_mode 1
		.amdhsa_memory_ordered 1
		.amdhsa_forward_progress 0
		.amdhsa_shared_vgpr_count 0
		.amdhsa_exception_fp_ieee_invalid_op 0
		.amdhsa_exception_fp_denorm_src 0
		.amdhsa_exception_fp_ieee_div_zero 0
		.amdhsa_exception_fp_ieee_overflow 0
		.amdhsa_exception_fp_ieee_underflow 0
		.amdhsa_exception_fp_ieee_inexact 0
		.amdhsa_exception_int_div_zero 0
	.end_amdhsa_kernel
	.text
.Lfunc_end0:
	.size	fft_rtc_fwd_len350_factors_5_7_10_wgs_50_tpt_50_dp_op_CI_CI_sbrr_dirReg, .Lfunc_end0-fft_rtc_fwd_len350_factors_5_7_10_wgs_50_tpt_50_dp_op_CI_CI_sbrr_dirReg
                                        ; -- End function
	.section	.AMDGPU.csdata,"",@progbits
; Kernel info:
; codeLenInByte = 6920
; NumSgprs: 33
; NumVgprs: 112
; ScratchSize: 0
; MemoryBound: 0
; FloatMode: 240
; IeeeMode: 1
; LDSByteSize: 0 bytes/workgroup (compile time only)
; SGPRBlocks: 4
; VGPRBlocks: 13
; NumSGPRsForWavesPerEU: 33
; NumVGPRsForWavesPerEU: 112
; Occupancy: 9
; WaveLimiterHint : 1
; COMPUTE_PGM_RSRC2:SCRATCH_EN: 0
; COMPUTE_PGM_RSRC2:USER_SGPR: 6
; COMPUTE_PGM_RSRC2:TRAP_HANDLER: 0
; COMPUTE_PGM_RSRC2:TGID_X_EN: 1
; COMPUTE_PGM_RSRC2:TGID_Y_EN: 0
; COMPUTE_PGM_RSRC2:TGID_Z_EN: 0
; COMPUTE_PGM_RSRC2:TIDIG_COMP_CNT: 0
	.text
	.p2alignl 6, 3214868480
	.fill 48, 4, 3214868480
	.type	__hip_cuid_41576408b6362cd0,@object ; @__hip_cuid_41576408b6362cd0
	.section	.bss,"aw",@nobits
	.globl	__hip_cuid_41576408b6362cd0
__hip_cuid_41576408b6362cd0:
	.byte	0                               ; 0x0
	.size	__hip_cuid_41576408b6362cd0, 1

	.ident	"AMD clang version 19.0.0git (https://github.com/RadeonOpenCompute/llvm-project roc-6.4.0 25133 c7fe45cf4b819c5991fe208aaa96edf142730f1d)"
	.section	".note.GNU-stack","",@progbits
	.addrsig
	.addrsig_sym __hip_cuid_41576408b6362cd0
	.amdgpu_metadata
---
amdhsa.kernels:
  - .args:
      - .actual_access:  read_only
        .address_space:  global
        .offset:         0
        .size:           8
        .value_kind:     global_buffer
      - .offset:         8
        .size:           8
        .value_kind:     by_value
      - .actual_access:  read_only
        .address_space:  global
        .offset:         16
        .size:           8
        .value_kind:     global_buffer
      - .actual_access:  read_only
        .address_space:  global
        .offset:         24
        .size:           8
        .value_kind:     global_buffer
      - .actual_access:  read_only
        .address_space:  global
        .offset:         32
        .size:           8
        .value_kind:     global_buffer
      - .offset:         40
        .size:           8
        .value_kind:     by_value
      - .actual_access:  read_only
        .address_space:  global
        .offset:         48
        .size:           8
        .value_kind:     global_buffer
      - .actual_access:  read_only
        .address_space:  global
        .offset:         56
        .size:           8
        .value_kind:     global_buffer
      - .offset:         64
        .size:           4
        .value_kind:     by_value
      - .actual_access:  read_only
        .address_space:  global
        .offset:         72
        .size:           8
        .value_kind:     global_buffer
      - .actual_access:  read_only
        .address_space:  global
        .offset:         80
        .size:           8
        .value_kind:     global_buffer
      - .actual_access:  read_only
        .address_space:  global
        .offset:         88
        .size:           8
        .value_kind:     global_buffer
      - .actual_access:  write_only
        .address_space:  global
        .offset:         96
        .size:           8
        .value_kind:     global_buffer
    .group_segment_fixed_size: 0
    .kernarg_segment_align: 8
    .kernarg_segment_size: 104
    .language:       OpenCL C
    .language_version:
      - 2
      - 0
    .max_flat_workgroup_size: 50
    .name:           fft_rtc_fwd_len350_factors_5_7_10_wgs_50_tpt_50_dp_op_CI_CI_sbrr_dirReg
    .private_segment_fixed_size: 0
    .sgpr_count:     33
    .sgpr_spill_count: 0
    .symbol:         fft_rtc_fwd_len350_factors_5_7_10_wgs_50_tpt_50_dp_op_CI_CI_sbrr_dirReg.kd
    .uniform_work_group_size: 1
    .uses_dynamic_stack: false
    .vgpr_count:     112
    .vgpr_spill_count: 0
    .wavefront_size: 32
    .workgroup_processor_mode: 1
amdhsa.target:   amdgcn-amd-amdhsa--gfx1030
amdhsa.version:
  - 1
  - 2
...

	.end_amdgpu_metadata
